;; amdgpu-corpus repo=ROCm/rocFFT kind=compiled arch=gfx906 opt=O3
	.text
	.amdgcn_target "amdgcn-amd-amdhsa--gfx906"
	.amdhsa_code_object_version 6
	.protected	fft_rtc_fwd_len2187_factors_3_3_3_3_3_3_3_wgs_243_tpt_243_halfLds_sp_op_CI_CI_sbrr_dirReg ; -- Begin function fft_rtc_fwd_len2187_factors_3_3_3_3_3_3_3_wgs_243_tpt_243_halfLds_sp_op_CI_CI_sbrr_dirReg
	.globl	fft_rtc_fwd_len2187_factors_3_3_3_3_3_3_3_wgs_243_tpt_243_halfLds_sp_op_CI_CI_sbrr_dirReg
	.p2align	8
	.type	fft_rtc_fwd_len2187_factors_3_3_3_3_3_3_3_wgs_243_tpt_243_halfLds_sp_op_CI_CI_sbrr_dirReg,@function
fft_rtc_fwd_len2187_factors_3_3_3_3_3_3_3_wgs_243_tpt_243_halfLds_sp_op_CI_CI_sbrr_dirReg: ; @fft_rtc_fwd_len2187_factors_3_3_3_3_3_3_3_wgs_243_tpt_243_halfLds_sp_op_CI_CI_sbrr_dirReg
; %bb.0:
	s_load_dwordx4 s[16:19], s[4:5], 0x18
	s_load_dwordx4 s[12:15], s[4:5], 0x0
	;; [unrolled: 1-line block ×3, first 2 shown]
	v_mul_u32_u24_e32 v1, 0x10e, v0
	v_mov_b32_e32 v7, 0
	s_waitcnt lgkmcnt(0)
	s_load_dwordx2 s[20:21], s[16:17], 0x0
	s_load_dwordx2 s[2:3], s[18:19], 0x0
	v_cmp_lt_u64_e64 s[0:1], s[14:15], 2
	v_mov_b32_e32 v5, 0
	v_add_u32_sdwa v9, s6, v1 dst_sel:DWORD dst_unused:UNUSED_PAD src0_sel:DWORD src1_sel:WORD_1
	v_mov_b32_e32 v10, v7
	s_and_b64 vcc, exec, s[0:1]
	v_mov_b32_e32 v6, 0
	s_cbranch_vccnz .LBB0_8
; %bb.1:
	s_load_dwordx2 s[0:1], s[4:5], 0x10
	s_add_u32 s6, s18, 8
	s_addc_u32 s7, s19, 0
	s_add_u32 s22, s16, 8
	s_addc_u32 s23, s17, 0
	v_mov_b32_e32 v5, 0
	s_waitcnt lgkmcnt(0)
	s_add_u32 s24, s0, 8
	v_mov_b32_e32 v6, 0
	v_mov_b32_e32 v1, v5
	s_addc_u32 s25, s1, 0
	s_mov_b64 s[26:27], 1
	v_mov_b32_e32 v2, v6
.LBB0_2:                                ; =>This Inner Loop Header: Depth=1
	s_load_dwordx2 s[28:29], s[24:25], 0x0
                                        ; implicit-def: $vgpr3_vgpr4
	s_waitcnt lgkmcnt(0)
	v_or_b32_e32 v8, s29, v10
	v_cmp_ne_u64_e32 vcc, 0, v[7:8]
	s_and_saveexec_b64 s[0:1], vcc
	s_xor_b64 s[30:31], exec, s[0:1]
	s_cbranch_execz .LBB0_4
; %bb.3:                                ;   in Loop: Header=BB0_2 Depth=1
	v_cvt_f32_u32_e32 v3, s28
	v_cvt_f32_u32_e32 v4, s29
	s_sub_u32 s0, 0, s28
	s_subb_u32 s1, 0, s29
	v_mac_f32_e32 v3, 0x4f800000, v4
	v_rcp_f32_e32 v3, v3
	v_mul_f32_e32 v3, 0x5f7ffffc, v3
	v_mul_f32_e32 v4, 0x2f800000, v3
	v_trunc_f32_e32 v4, v4
	v_mac_f32_e32 v3, 0xcf800000, v4
	v_cvt_u32_f32_e32 v4, v4
	v_cvt_u32_f32_e32 v3, v3
	v_mul_lo_u32 v8, s0, v4
	v_mul_hi_u32 v11, s0, v3
	v_mul_lo_u32 v13, s1, v3
	v_mul_lo_u32 v12, s0, v3
	v_add_u32_e32 v8, v11, v8
	v_add_u32_e32 v8, v8, v13
	v_mul_hi_u32 v11, v3, v12
	v_mul_lo_u32 v13, v3, v8
	v_mul_hi_u32 v15, v3, v8
	v_mul_hi_u32 v14, v4, v12
	v_mul_lo_u32 v12, v4, v12
	v_mul_hi_u32 v16, v4, v8
	v_add_co_u32_e32 v11, vcc, v11, v13
	v_addc_co_u32_e32 v13, vcc, 0, v15, vcc
	v_mul_lo_u32 v8, v4, v8
	v_add_co_u32_e32 v11, vcc, v11, v12
	v_addc_co_u32_e32 v11, vcc, v13, v14, vcc
	v_addc_co_u32_e32 v12, vcc, 0, v16, vcc
	v_add_co_u32_e32 v8, vcc, v11, v8
	v_addc_co_u32_e32 v11, vcc, 0, v12, vcc
	v_add_co_u32_e32 v3, vcc, v3, v8
	v_addc_co_u32_e32 v4, vcc, v4, v11, vcc
	v_mul_lo_u32 v8, s0, v4
	v_mul_hi_u32 v11, s0, v3
	v_mul_lo_u32 v12, s1, v3
	v_mul_lo_u32 v13, s0, v3
	v_add_u32_e32 v8, v11, v8
	v_add_u32_e32 v8, v8, v12
	v_mul_lo_u32 v14, v3, v8
	v_mul_hi_u32 v15, v3, v13
	v_mul_hi_u32 v16, v3, v8
	;; [unrolled: 1-line block ×3, first 2 shown]
	v_mul_lo_u32 v13, v4, v13
	v_mul_hi_u32 v11, v4, v8
	v_add_co_u32_e32 v14, vcc, v15, v14
	v_addc_co_u32_e32 v15, vcc, 0, v16, vcc
	v_mul_lo_u32 v8, v4, v8
	v_add_co_u32_e32 v13, vcc, v14, v13
	v_addc_co_u32_e32 v12, vcc, v15, v12, vcc
	v_addc_co_u32_e32 v11, vcc, 0, v11, vcc
	v_add_co_u32_e32 v8, vcc, v12, v8
	v_addc_co_u32_e32 v11, vcc, 0, v11, vcc
	v_add_co_u32_e32 v8, vcc, v3, v8
	v_addc_co_u32_e32 v11, vcc, v4, v11, vcc
	v_mad_u64_u32 v[3:4], s[0:1], v9, v11, 0
	v_mul_hi_u32 v12, v9, v8
	v_add_co_u32_e32 v13, vcc, v12, v3
	v_addc_co_u32_e32 v14, vcc, 0, v4, vcc
	v_mad_u64_u32 v[3:4], s[0:1], v10, v8, 0
	v_mad_u64_u32 v[11:12], s[0:1], v10, v11, 0
	v_add_co_u32_e32 v3, vcc, v13, v3
	v_addc_co_u32_e32 v3, vcc, v14, v4, vcc
	v_addc_co_u32_e32 v4, vcc, 0, v12, vcc
	v_add_co_u32_e32 v8, vcc, v3, v11
	v_addc_co_u32_e32 v11, vcc, 0, v4, vcc
	v_mul_lo_u32 v12, s29, v8
	v_mul_lo_u32 v13, s28, v11
	v_mad_u64_u32 v[3:4], s[0:1], s28, v8, 0
	v_add3_u32 v4, v4, v13, v12
	v_sub_u32_e32 v12, v10, v4
	v_mov_b32_e32 v13, s29
	v_sub_co_u32_e32 v3, vcc, v9, v3
	v_subb_co_u32_e64 v12, s[0:1], v12, v13, vcc
	v_subrev_co_u32_e64 v13, s[0:1], s28, v3
	v_subbrev_co_u32_e64 v12, s[0:1], 0, v12, s[0:1]
	v_cmp_le_u32_e64 s[0:1], s29, v12
	v_cndmask_b32_e64 v14, 0, -1, s[0:1]
	v_cmp_le_u32_e64 s[0:1], s28, v13
	v_cndmask_b32_e64 v13, 0, -1, s[0:1]
	v_cmp_eq_u32_e64 s[0:1], s29, v12
	v_cndmask_b32_e64 v12, v14, v13, s[0:1]
	v_add_co_u32_e64 v13, s[0:1], 2, v8
	v_addc_co_u32_e64 v14, s[0:1], 0, v11, s[0:1]
	v_add_co_u32_e64 v15, s[0:1], 1, v8
	v_addc_co_u32_e64 v16, s[0:1], 0, v11, s[0:1]
	v_subb_co_u32_e32 v4, vcc, v10, v4, vcc
	v_cmp_ne_u32_e64 s[0:1], 0, v12
	v_cmp_le_u32_e32 vcc, s29, v4
	v_cndmask_b32_e64 v12, v16, v14, s[0:1]
	v_cndmask_b32_e64 v14, 0, -1, vcc
	v_cmp_le_u32_e32 vcc, s28, v3
	v_cndmask_b32_e64 v3, 0, -1, vcc
	v_cmp_eq_u32_e32 vcc, s29, v4
	v_cndmask_b32_e32 v3, v14, v3, vcc
	v_cmp_ne_u32_e32 vcc, 0, v3
	v_cndmask_b32_e64 v3, v15, v13, s[0:1]
	v_cndmask_b32_e32 v4, v11, v12, vcc
	v_cndmask_b32_e32 v3, v8, v3, vcc
.LBB0_4:                                ;   in Loop: Header=BB0_2 Depth=1
	s_andn2_saveexec_b64 s[0:1], s[30:31]
	s_cbranch_execz .LBB0_6
; %bb.5:                                ;   in Loop: Header=BB0_2 Depth=1
	v_cvt_f32_u32_e32 v3, s28
	s_sub_i32 s30, 0, s28
	v_rcp_iflag_f32_e32 v3, v3
	v_mul_f32_e32 v3, 0x4f7ffffe, v3
	v_cvt_u32_f32_e32 v3, v3
	v_mul_lo_u32 v4, s30, v3
	v_mul_hi_u32 v4, v3, v4
	v_add_u32_e32 v3, v3, v4
	v_mul_hi_u32 v3, v9, v3
	v_mul_lo_u32 v4, v3, s28
	v_add_u32_e32 v8, 1, v3
	v_sub_u32_e32 v4, v9, v4
	v_subrev_u32_e32 v11, s28, v4
	v_cmp_le_u32_e32 vcc, s28, v4
	v_cndmask_b32_e32 v4, v4, v11, vcc
	v_cndmask_b32_e32 v3, v3, v8, vcc
	v_add_u32_e32 v8, 1, v3
	v_cmp_le_u32_e32 vcc, s28, v4
	v_cndmask_b32_e32 v3, v3, v8, vcc
	v_mov_b32_e32 v4, v7
.LBB0_6:                                ;   in Loop: Header=BB0_2 Depth=1
	s_or_b64 exec, exec, s[0:1]
	v_mul_lo_u32 v8, v4, s28
	v_mul_lo_u32 v13, v3, s29
	v_mad_u64_u32 v[11:12], s[0:1], v3, s28, 0
	s_load_dwordx2 s[0:1], s[22:23], 0x0
	s_load_dwordx2 s[28:29], s[6:7], 0x0
	v_add3_u32 v8, v12, v13, v8
	v_sub_co_u32_e32 v9, vcc, v9, v11
	v_subb_co_u32_e32 v8, vcc, v10, v8, vcc
	s_waitcnt lgkmcnt(0)
	v_mul_lo_u32 v10, s0, v8
	v_mul_lo_u32 v11, s1, v9
	v_mad_u64_u32 v[5:6], s[0:1], s0, v9, v[5:6]
	v_mul_lo_u32 v8, s28, v8
	v_mul_lo_u32 v12, s29, v9
	v_mad_u64_u32 v[1:2], s[0:1], s28, v9, v[1:2]
	s_add_u32 s26, s26, 1
	s_addc_u32 s27, s27, 0
	s_add_u32 s6, s6, 8
	v_add3_u32 v2, v12, v2, v8
	s_addc_u32 s7, s7, 0
	v_mov_b32_e32 v8, s14
	s_add_u32 s22, s22, 8
	v_mov_b32_e32 v9, s15
	s_addc_u32 s23, s23, 0
	v_cmp_ge_u64_e32 vcc, s[26:27], v[8:9]
	s_add_u32 s24, s24, 8
	v_add3_u32 v6, v11, v6, v10
	s_addc_u32 s25, s25, 0
	s_cbranch_vccnz .LBB0_9
; %bb.7:                                ;   in Loop: Header=BB0_2 Depth=1
	v_mov_b32_e32 v10, v4
	v_mov_b32_e32 v9, v3
	s_branch .LBB0_2
.LBB0_8:
	v_mov_b32_e32 v1, v5
	v_mov_b32_e32 v3, v9
	;; [unrolled: 1-line block ×4, first 2 shown]
.LBB0_9:
	s_load_dwordx2 s[0:1], s[4:5], 0x28
	s_lshl_b64 s[14:15], s[14:15], 3
	s_add_u32 s4, s18, s14
	s_addc_u32 s5, s19, s15
                                        ; implicit-def: $vgpr24
                                        ; implicit-def: $vgpr25
                                        ; implicit-def: $vgpr26
	s_waitcnt lgkmcnt(0)
	v_cmp_gt_u64_e32 vcc, s[0:1], v[3:4]
	v_cmp_le_u64_e64 s[0:1], s[0:1], v[3:4]
	s_and_saveexec_b64 s[6:7], s[0:1]
	s_xor_b64 s[0:1], exec, s[6:7]
; %bb.10:
	s_mov_b32 s6, 0x10db20b
	v_mul_hi_u32 v5, v0, s6
	v_mul_u32_u24_e32 v5, 0xf3, v5
	v_sub_u32_e32 v24, v0, v5
	v_add_u32_e32 v25, 0xf3, v24
	v_add_u32_e32 v26, 0x1e6, v24
                                        ; implicit-def: $vgpr0
                                        ; implicit-def: $vgpr5_vgpr6
; %bb.11:
	s_or_saveexec_b64 s[6:7], s[0:1]
                                        ; implicit-def: $vgpr13
                                        ; implicit-def: $vgpr11
                                        ; implicit-def: $vgpr7
                                        ; implicit-def: $vgpr15
                                        ; implicit-def: $vgpr17
                                        ; implicit-def: $vgpr9
                                        ; implicit-def: $vgpr23
                                        ; implicit-def: $vgpr21
                                        ; implicit-def: $vgpr19
	s_xor_b64 exec, exec, s[6:7]
	s_cbranch_execz .LBB0_13
; %bb.12:
	s_add_u32 s0, s16, s14
	s_mov_b32 s14, 0x10db20b
	v_mul_hi_u32 v7, v0, s14
	s_addc_u32 s1, s17, s15
	s_load_dwordx2 s[0:1], s[0:1], 0x0
	v_lshlrev_b64 v[5:6], 3, v[5:6]
	v_mul_u32_u24_e32 v7, 0xf3, v7
	v_sub_u32_e32 v24, v0, v7
	v_mad_u64_u32 v[7:8], s[14:15], s20, v24, 0
	s_waitcnt lgkmcnt(0)
	v_mul_lo_u32 v13, s1, v3
	v_mul_lo_u32 v14, s0, v4
	v_mad_u64_u32 v[9:10], s[0:1], s0, v3, 0
	v_mov_b32_e32 v0, v8
	v_mad_u64_u32 v[11:12], s[0:1], s21, v24, v[0:1]
	v_add3_u32 v10, v10, v14, v13
	v_lshlrev_b64 v[9:10], 3, v[9:10]
	v_mov_b32_e32 v8, v11
	v_mov_b32_e32 v0, s9
	v_add_co_u32_e64 v11, s[0:1], s8, v9
	v_add_u32_e32 v12, 0x2d9, v24
	v_addc_co_u32_e64 v0, s[0:1], v0, v10, s[0:1]
	v_mad_u64_u32 v[9:10], s[0:1], s20, v12, 0
	v_add_co_u32_e64 v13, s[0:1], v11, v5
	v_addc_co_u32_e64 v14, s[0:1], v0, v6, s[0:1]
	v_mov_b32_e32 v0, v10
	v_lshlrev_b64 v[5:6], 3, v[7:8]
	v_mad_u64_u32 v[7:8], s[0:1], s21, v12, v[0:1]
	v_add_u32_e32 v8, 0x5b2, v24
	v_mad_u64_u32 v[11:12], s[0:1], s20, v8, 0
	v_add_co_u32_e64 v27, s[0:1], v13, v5
	v_mov_b32_e32 v0, v12
	v_addc_co_u32_e64 v28, s[0:1], v14, v6, s[0:1]
	v_mov_b32_e32 v10, v7
	v_mad_u64_u32 v[7:8], s[0:1], s21, v8, v[0:1]
	v_add_u32_e32 v25, 0xf3, v24
	v_lshlrev_b64 v[5:6], 3, v[9:10]
	v_mad_u64_u32 v[8:9], s[0:1], s20, v25, 0
	v_add_co_u32_e64 v29, s[0:1], v13, v5
	v_mov_b32_e32 v0, v9
	v_addc_co_u32_e64 v30, s[0:1], v14, v6, s[0:1]
	v_mov_b32_e32 v12, v7
	v_mad_u64_u32 v[9:10], s[0:1], s21, v25, v[0:1]
	v_add_u32_e32 v7, 0x3cc, v24
	v_lshlrev_b64 v[5:6], 3, v[11:12]
	v_mad_u64_u32 v[10:11], s[0:1], s20, v7, 0
	v_add_co_u32_e64 v31, s[0:1], v13, v5
	v_mov_b32_e32 v0, v11
	v_addc_co_u32_e64 v32, s[0:1], v14, v6, s[0:1]
	v_lshlrev_b64 v[5:6], 3, v[8:9]
	v_mad_u64_u32 v[7:8], s[0:1], s21, v7, v[0:1]
	v_add_u32_e32 v12, 0x6a5, v24
	v_mad_u64_u32 v[8:9], s[0:1], s20, v12, 0
	v_add_co_u32_e64 v33, s[0:1], v13, v5
	v_mov_b32_e32 v11, v7
	v_mov_b32_e32 v0, v9
	v_addc_co_u32_e64 v34, s[0:1], v14, v6, s[0:1]
	v_lshlrev_b64 v[5:6], 3, v[10:11]
	v_mad_u64_u32 v[9:10], s[0:1], s21, v12, v[0:1]
	v_add_u32_e32 v26, 0x1e6, v24
	v_mad_u64_u32 v[10:11], s[0:1], s20, v26, 0
	v_add_co_u32_e64 v35, s[0:1], v13, v5
	v_mov_b32_e32 v0, v11
	v_addc_co_u32_e64 v36, s[0:1], v14, v6, s[0:1]
	v_lshlrev_b64 v[5:6], 3, v[8:9]
	v_mad_u64_u32 v[7:8], s[0:1], s21, v26, v[0:1]
	v_add_u32_e32 v12, 0x4bf, v24
	v_mad_u64_u32 v[8:9], s[0:1], s20, v12, 0
	v_add_co_u32_e64 v37, s[0:1], v13, v5
	v_mov_b32_e32 v11, v7
	v_mov_b32_e32 v0, v9
	v_addc_co_u32_e64 v38, s[0:1], v14, v6, s[0:1]
	v_lshlrev_b64 v[5:6], 3, v[10:11]
	v_mad_u64_u32 v[9:10], s[0:1], s21, v12, v[0:1]
	v_add_u32_e32 v7, 0x798, v24
	v_mad_u64_u32 v[10:11], s[0:1], s20, v7, 0
	v_add_co_u32_e64 v39, s[0:1], v13, v5
	v_mov_b32_e32 v0, v11
	v_addc_co_u32_e64 v40, s[0:1], v14, v6, s[0:1]
	v_lshlrev_b64 v[5:6], 3, v[8:9]
	v_mad_u64_u32 v[7:8], s[0:1], s21, v7, v[0:1]
	v_add_co_u32_e64 v41, s[0:1], v13, v5
	v_mov_b32_e32 v11, v7
	v_addc_co_u32_e64 v42, s[0:1], v14, v6, s[0:1]
	v_lshlrev_b64 v[5:6], 3, v[10:11]
	v_add_co_u32_e64 v43, s[0:1], v13, v5
	v_addc_co_u32_e64 v44, s[0:1], v14, v6, s[0:1]
	global_load_dwordx2 v[18:19], v[27:28], off
	global_load_dwordx2 v[20:21], v[29:30], off
	;; [unrolled: 1-line block ×9, first 2 shown]
.LBB0_13:
	s_or_b64 exec, exec, s[6:7]
	s_waitcnt vmcnt(6)
	v_add_f32_e32 v5, v22, v20
	v_add_f32_e32 v0, v20, v18
	v_fmac_f32_e32 v18, -0.5, v5
	v_sub_f32_e32 v5, v21, v23
	v_mov_b32_e32 v27, v18
	v_fmac_f32_e32 v27, 0x3f5db3d7, v5
	v_fmac_f32_e32 v18, 0xbf5db3d7, v5
	v_add_f32_e32 v5, v21, v19
	v_add_f32_e32 v21, v23, v21
	v_fmac_f32_e32 v19, -0.5, v21
	s_waitcnt vmcnt(3)
	v_add_f32_e32 v21, v14, v16
	v_sub_f32_e32 v37, v20, v22
	v_add_f32_e32 v20, v16, v8
	v_fmac_f32_e32 v8, -0.5, v21
	v_add_f32_e32 v0, v22, v0
	v_add_f32_e32 v5, v23, v5
	v_sub_f32_e32 v21, v17, v15
	v_mov_b32_e32 v22, v8
	s_waitcnt vmcnt(0)
	v_add_f32_e32 v23, v12, v10
	v_fmac_f32_e32 v22, 0x3f5db3d7, v21
	v_fmac_f32_e32 v8, 0xbf5db3d7, v21
	v_add_f32_e32 v21, v10, v6
	v_fmac_f32_e32 v6, -0.5, v23
	v_mad_u32_u24 v39, v24, 12, 0
	s_load_dwordx2 s[4:5], s[4:5], 0x0
	v_add_f32_e32 v20, v14, v20
	v_sub_f32_e32 v23, v11, v13
	v_mov_b32_e32 v28, v6
	ds_write2_b32 v39, v0, v27 offset1:1
	ds_write_b32 v39, v18 offset:8
	v_mad_i32_i24 v18, v25, 12, 0
	v_mov_b32_e32 v38, v19
	v_add_f32_e32 v21, v12, v21
	v_fmac_f32_e32 v28, 0x3f5db3d7, v23
	v_fmac_f32_e32 v6, 0xbf5db3d7, v23
	ds_write2_b32 v18, v20, v22 offset1:1
	ds_write_b32 v18, v8 offset:8
	v_mad_i32_i24 v20, v26, 12, 0
	v_lshlrev_b32_e32 v0, 3, v24
	v_fmac_f32_e32 v38, 0xbf5db3d7, v37
	ds_write2_b32 v20, v21, v28 offset1:1
	ds_write_b32 v20, v6 offset:8
	v_sub_u32_e32 v0, v39, v0
	v_lshlrev_b32_e32 v27, 3, v25
	v_lshlrev_b32_e32 v28, 3, v26
	v_add_f32_e32 v6, v15, v17
	s_waitcnt lgkmcnt(0)
	s_barrier
	v_add_u32_e32 v21, 0xb40, v0
	v_add_u32_e32 v22, 0x12e0, v0
	v_sub_u32_e32 v29, v18, v27
	v_add_u32_e32 v23, 0x1a80, v0
	v_sub_u32_e32 v30, v20, v28
	ds_read_b32 v40, v0
	ds_read_b32 v41, v29
	;; [unrolled: 1-line block ×3, first 2 shown]
	ds_read2_b32 v[31:32], v21 offset0:9 offset1:252
	ds_read2_b32 v[33:34], v22 offset0:7 offset1:250
	ds_read2_b32 v[35:36], v23 offset0:5 offset1:248
	s_waitcnt lgkmcnt(0)
	s_barrier
	ds_write2_b32 v39, v5, v38 offset1:1
	v_add_f32_e32 v5, v17, v9
	v_fmac_f32_e32 v9, -0.5, v6
	v_sub_f32_e32 v8, v16, v14
	v_add_f32_e32 v14, v11, v7
	v_add_f32_e32 v11, v13, v11
	v_mov_b32_e32 v6, v9
	v_fmac_f32_e32 v19, 0x3f5db3d7, v37
	v_add_f32_e32 v5, v15, v5
	v_fmac_f32_e32 v6, 0xbf5db3d7, v8
	v_fmac_f32_e32 v7, -0.5, v11
	ds_write_b32 v39, v19 offset:8
	v_sub_f32_e32 v10, v10, v12
	ds_write2_b32 v18, v5, v6 offset1:1
	v_mov_b32_e32 v5, v7
	v_fmac_f32_e32 v9, 0x3f5db3d7, v8
	v_fmac_f32_e32 v5, 0xbf5db3d7, v10
	s_movk_i32 s0, 0xab
	v_add_f32_e32 v12, v13, v14
	v_fmac_f32_e32 v7, 0x3f5db3d7, v10
	ds_write_b32 v18, v9 offset:8
	ds_write2_b32 v20, v12, v5 offset1:1
	ds_write_b32 v20, v7 offset:8
	v_mul_lo_u16_sdwa v5, v24, s0 dst_sel:DWORD dst_unused:UNUSED_PAD src0_sel:BYTE_0 src1_sel:DWORD
	v_lshrrev_b16_e32 v19, 9, v5
	v_mul_lo_u16_e32 v5, 3, v19
	v_sub_u16_e32 v39, v24, v5
	v_mov_b32_e32 v5, 4
	v_lshlrev_b32_sdwa v6, v5, v39 dst_sel:DWORD dst_unused:UNUSED_PAD src0_sel:DWORD src1_sel:BYTE_0
	s_mov_b32 s0, 0xaaab
	s_waitcnt lgkmcnt(0)
	s_barrier
	global_load_dwordx4 v[6:9], v6, s[12:13]
	v_mul_u32_u24_sdwa v10, v25, s0 dst_sel:DWORD dst_unused:UNUSED_PAD src0_sel:WORD_0 src1_sel:DWORD
	v_lshrrev_b32_e32 v43, 17, v10
	v_mul_lo_u16_e32 v10, 3, v43
	v_sub_u16_e32 v44, v25, v10
	v_lshlrev_b32_e32 v10, 4, v44
	global_load_dwordx4 v[10:13], v10, s[12:13]
	ds_read2_b32 v[14:15], v21 offset0:9 offset1:252
	ds_read2_b32 v[16:17], v22 offset0:7 offset1:250
	s_waitcnt vmcnt(1) lgkmcnt(1)
	v_mul_f32_e32 v37, v14, v7
	v_fma_f32 v45, v31, v6, -v37
	ds_read2_b32 v[37:38], v23 offset0:5 offset1:248
	v_mul_f32_e32 v31, v31, v7
	v_fmac_f32_e32 v31, v14, v6
	s_waitcnt lgkmcnt(1)
	v_mul_f32_e32 v6, v17, v9
	v_fma_f32 v14, v34, v8, -v6
	v_mul_f32_e32 v34, v34, v9
	s_waitcnt vmcnt(0)
	v_mul_f32_e32 v6, v15, v11
	v_fmac_f32_e32 v34, v17, v8
	v_fma_f32 v17, v32, v10, -v6
	v_mul_f32_e32 v11, v32, v11
	s_waitcnt lgkmcnt(0)
	v_mul_f32_e32 v6, v37, v13
	v_fmac_f32_e32 v11, v15, v10
	v_fma_f32 v10, v35, v12, -v6
	v_mul_f32_e32 v13, v35, v13
	v_mul_u32_u24_sdwa v6, v26, s0 dst_sel:DWORD dst_unused:UNUSED_PAD src0_sel:WORD_0 src1_sel:DWORD
	v_fmac_f32_e32 v13, v37, v12
	v_lshrrev_b32_e32 v12, 17, v6
	v_mul_lo_u16_e32 v6, 3, v12
	v_sub_u16_e32 v15, v26, v6
	v_lshlrev_b32_e32 v6, 4, v15
	global_load_dwordx4 v[6:9], v6, s[12:13]
	s_mov_b32 s0, 0xe38f
	s_waitcnt vmcnt(0)
	v_mul_f32_e32 v32, v16, v7
	v_mul_f32_e32 v37, v33, v7
	v_fma_f32 v35, v33, v6, -v32
	v_fmac_f32_e32 v37, v16, v6
	v_mul_f32_e32 v6, v38, v9
	v_fma_f32 v16, v36, v8, -v6
	v_mul_f32_e32 v36, v36, v9
	v_add_f32_e32 v7, v45, v14
	v_mov_b32_e32 v9, 2
	v_fmac_f32_e32 v36, v38, v8
	v_add_f32_e32 v6, v40, v45
	v_fmac_f32_e32 v40, -0.5, v7
	v_mul_u32_u24_e32 v7, 36, v19
	v_lshlrev_b32_sdwa v8, v9, v39 dst_sel:DWORD dst_unused:UNUSED_PAD src0_sel:DWORD src1_sel:BYTE_0
	v_add3_u32 v8, 0, v7, v8
	v_sub_f32_e32 v7, v31, v34
	v_mov_b32_e32 v19, v40
	v_add_f32_e32 v6, v6, v14
	v_fmac_f32_e32 v19, 0x3f5db3d7, v7
	v_fmac_f32_e32 v40, 0xbf5db3d7, v7
	v_add_f32_e32 v7, v17, v10
	ds_read_b32 v38, v0
	ds_read_b32 v39, v29
	;; [unrolled: 1-line block ×3, first 2 shown]
	s_waitcnt lgkmcnt(0)
	s_barrier
	ds_write2_b32 v8, v6, v19 offset1:3
	v_add_f32_e32 v6, v41, v17
	v_fmac_f32_e32 v41, -0.5, v7
	v_mul_u32_u24_e32 v7, 36, v43
	v_lshlrev_b32_e32 v19, 2, v44
	v_add3_u32 v19, 0, v7, v19
	v_sub_f32_e32 v7, v11, v13
	v_mov_b32_e32 v32, v41
	v_add_f32_e32 v6, v6, v10
	v_fmac_f32_e32 v32, 0x3f5db3d7, v7
	v_fmac_f32_e32 v41, 0xbf5db3d7, v7
	v_add_f32_e32 v7, v35, v16
	ds_write_b32 v8, v40 offset:24
	ds_write2_b32 v19, v6, v32 offset1:3
	v_add_f32_e32 v6, v42, v35
	v_fmac_f32_e32 v42, -0.5, v7
	v_mul_u32_u24_e32 v7, 36, v12
	v_lshlrev_b32_e32 v12, 2, v15
	v_add3_u32 v12, 0, v7, v12
	v_sub_f32_e32 v7, v37, v36
	v_mov_b32_e32 v15, v42
	v_add_f32_e32 v6, v6, v16
	v_fmac_f32_e32 v15, 0x3f5db3d7, v7
	ds_write_b32 v19, v41 offset:24
	ds_write2_b32 v12, v6, v15 offset1:3
	v_add_f32_e32 v6, v38, v31
	v_add_f32_e32 v15, v6, v34
	;; [unrolled: 1-line block ×3, first 2 shown]
	v_fmac_f32_e32 v38, -0.5, v6
	v_sub_f32_e32 v14, v45, v14
	v_mov_b32_e32 v40, v38
	v_fmac_f32_e32 v42, 0xbf5db3d7, v7
	v_fmac_f32_e32 v40, 0xbf5db3d7, v14
	v_fmac_f32_e32 v38, 0x3f5db3d7, v14
	ds_write_b32 v12, v42 offset:24
	s_waitcnt lgkmcnt(0)
	s_barrier
	ds_read_b32 v41, v0
	ds_read_b32 v42, v29
	;; [unrolled: 1-line block ×3, first 2 shown]
	ds_read2_b32 v[6:7], v21 offset0:9 offset1:252
	ds_read2_b32 v[31:32], v22 offset0:7 offset1:250
	;; [unrolled: 1-line block ×3, first 2 shown]
	s_waitcnt lgkmcnt(0)
	s_barrier
	ds_write2_b32 v8, v15, v40 offset1:3
	ds_write_b32 v8, v38 offset:24
	v_add_f32_e32 v8, v39, v11
	v_add_f32_e32 v11, v11, v13
	v_fmac_f32_e32 v39, -0.5, v11
	v_sub_f32_e32 v10, v17, v10
	v_mov_b32_e32 v11, v39
	v_add_f32_e32 v8, v8, v13
	v_fmac_f32_e32 v11, 0xbf5db3d7, v10
	v_fmac_f32_e32 v39, 0x3f5db3d7, v10
	v_add_f32_e32 v10, v37, v36
	ds_write2_b32 v19, v8, v11 offset1:3
	v_add_f32_e32 v8, v46, v37
	v_fmac_f32_e32 v46, -0.5, v10
	v_sub_f32_e32 v10, v35, v16
	v_mov_b32_e32 v11, v46
	v_add_f32_e32 v8, v8, v36
	v_fmac_f32_e32 v11, 0xbf5db3d7, v10
	ds_write_b32 v19, v39 offset:24
	v_fmac_f32_e32 v46, 0x3f5db3d7, v10
	ds_write2_b32 v12, v8, v11 offset1:3
	ds_write_b32 v12, v46 offset:24
	v_mov_b32_e32 v8, 57
	v_mul_lo_u16_sdwa v8, v24, v8 dst_sel:DWORD dst_unused:UNUSED_PAD src0_sel:BYTE_0 src1_sel:DWORD
	v_lshrrev_b16_e32 v8, 9, v8
	v_mul_lo_u16_e32 v10, 9, v8
	v_sub_u16_e32 v19, v24, v10
	v_lshlrev_b32_sdwa v10, v5, v19 dst_sel:DWORD dst_unused:UNUSED_PAD src0_sel:DWORD src1_sel:BYTE_0
	s_waitcnt lgkmcnt(0)
	s_barrier
	global_load_dwordx4 v[10:13], v10, s[12:13] offset:48
	v_mul_u32_u24_sdwa v14, v25, s0 dst_sel:DWORD dst_unused:UNUSED_PAD src0_sel:WORD_0 src1_sel:DWORD
	v_lshrrev_b32_e32 v40, 19, v14
	v_mul_lo_u16_e32 v14, 9, v40
	v_sub_u16_e32 v44, v25, v14
	v_lshlrev_b32_e32 v14, 4, v44
	global_load_dwordx4 v[14:17], v14, s[12:13] offset:48
	ds_read2_b32 v[35:36], v21 offset0:9 offset1:252
	ds_read2_b32 v[37:38], v22 offset0:7 offset1:250
	v_mul_u32_u24_e32 v8, 0x6c, v8
	v_lshlrev_b32_sdwa v19, v9, v19 dst_sel:DWORD dst_unused:UNUSED_PAD src0_sel:DWORD src1_sel:BYTE_0
	v_add3_u32 v8, 0, v8, v19
	s_waitcnt vmcnt(1) lgkmcnt(1)
	v_mul_f32_e32 v39, v35, v11
	v_fma_f32 v45, v6, v10, -v39
	v_mul_f32_e32 v6, v6, v11
	v_fmac_f32_e32 v6, v35, v10
	s_waitcnt lgkmcnt(0)
	v_mul_f32_e32 v10, v38, v13
	v_fma_f32 v35, v32, v12, -v10
	v_mul_f32_e32 v32, v32, v13
	v_fmac_f32_e32 v32, v38, v12
	ds_read2_b32 v[38:39], v23 offset0:5 offset1:248
	s_waitcnt vmcnt(0)
	v_mul_f32_e32 v10, v36, v15
	v_fma_f32 v46, v7, v14, -v10
	v_mul_f32_e32 v15, v7, v15
	v_fmac_f32_e32 v15, v36, v14
	s_waitcnt lgkmcnt(0)
	v_mul_f32_e32 v7, v38, v17
	v_fma_f32 v14, v33, v16, -v7
	v_mul_u32_u24_sdwa v7, v26, s0 dst_sel:DWORD dst_unused:UNUSED_PAD src0_sel:WORD_0 src1_sel:DWORD
	v_lshrrev_b32_e32 v7, 19, v7
	v_mul_f32_e32 v17, v33, v17
	v_mul_lo_u16_e32 v10, 9, v7
	v_fmac_f32_e32 v17, v38, v16
	v_sub_u16_e32 v16, v26, v10
	v_lshlrev_b32_e32 v10, 4, v16
	global_load_dwordx4 v[10:13], v10, s[12:13] offset:48
	v_sub_f32_e32 v19, v6, v32
	v_mul_u32_u24_e32 v7, 0x6c, v7
	v_lshlrev_b32_e32 v16, 2, v16
	v_add3_u32 v16, 0, v7, v16
	s_movk_i32 s0, 0x2f69
	s_waitcnt vmcnt(0)
	v_mul_f32_e32 v33, v37, v11
	v_mul_f32_e32 v11, v31, v11
	v_fma_f32 v36, v31, v10, -v33
	v_fmac_f32_e32 v11, v37, v10
	v_mul_f32_e32 v10, v39, v13
	v_mul_f32_e32 v13, v34, v13
	v_add_f32_e32 v31, v45, v35
	v_fma_f32 v10, v34, v12, -v10
	v_fmac_f32_e32 v13, v39, v12
	v_add_f32_e32 v12, v41, v45
	v_fmac_f32_e32 v41, -0.5, v31
	v_mov_b32_e32 v31, v41
	v_add_f32_e32 v12, v12, v35
	v_fmac_f32_e32 v31, 0x3f5db3d7, v19
	v_fmac_f32_e32 v41, 0xbf5db3d7, v19
	v_add_f32_e32 v19, v46, v14
	ds_read_b32 v37, v0
	ds_read_b32 v38, v29
	;; [unrolled: 1-line block ×3, first 2 shown]
	s_waitcnt lgkmcnt(0)
	s_barrier
	ds_write2_b32 v8, v12, v31 offset1:9
	v_add_f32_e32 v12, v42, v46
	v_fmac_f32_e32 v42, -0.5, v19
	v_mul_u32_u24_e32 v19, 0x6c, v40
	v_lshlrev_b32_e32 v31, 2, v44
	v_add3_u32 v19, 0, v19, v31
	v_sub_f32_e32 v31, v15, v17
	v_mov_b32_e32 v33, v42
	v_add_f32_e32 v12, v12, v14
	v_fmac_f32_e32 v33, 0x3f5db3d7, v31
	v_fmac_f32_e32 v42, 0xbf5db3d7, v31
	v_add_f32_e32 v31, v36, v10
	ds_write_b32 v8, v41 offset:72
	ds_write2_b32 v19, v12, v33 offset1:9
	v_add_f32_e32 v12, v43, v36
	v_fmac_f32_e32 v43, -0.5, v31
	v_add_f32_e32 v7, v12, v10
	v_sub_f32_e32 v12, v11, v13
	v_mov_b32_e32 v31, v43
	v_fmac_f32_e32 v31, 0x3f5db3d7, v12
	ds_write_b32 v19, v42 offset:72
	ds_write2_b32 v16, v7, v31 offset1:9
	v_add_f32_e32 v7, v37, v6
	v_add_f32_e32 v6, v6, v32
	v_fmac_f32_e32 v37, -0.5, v6
	v_sub_f32_e32 v35, v45, v35
	v_fmac_f32_e32 v43, 0xbf5db3d7, v12
	v_mov_b32_e32 v12, v37
	v_add_f32_e32 v40, v7, v32
	v_fmac_f32_e32 v12, 0xbf5db3d7, v35
	ds_write_b32 v16, v43 offset:72
	s_waitcnt lgkmcnt(0)
	s_barrier
	ds_read_b32 v41, v0
	ds_read_b32 v42, v29
	;; [unrolled: 1-line block ×3, first 2 shown]
	ds_read2_b32 v[6:7], v21 offset0:9 offset1:252
	ds_read2_b32 v[31:32], v22 offset0:7 offset1:250
	;; [unrolled: 1-line block ×3, first 2 shown]
	s_waitcnt lgkmcnt(0)
	s_barrier
	ds_write2_b32 v8, v40, v12 offset1:9
	v_fmac_f32_e32 v37, 0x3f5db3d7, v35
	v_add_f32_e32 v12, v15, v17
	ds_write_b32 v8, v37 offset:72
	v_add_f32_e32 v8, v38, v15
	v_fmac_f32_e32 v38, -0.5, v12
	v_sub_f32_e32 v12, v46, v14
	v_mov_b32_e32 v14, v38
	v_add_f32_e32 v8, v8, v17
	v_fmac_f32_e32 v14, 0xbf5db3d7, v12
	ds_write2_b32 v19, v8, v14 offset1:9
	v_add_f32_e32 v8, v39, v11
	v_add_f32_e32 v11, v11, v13
	v_fmac_f32_e32 v39, -0.5, v11
	v_sub_f32_e32 v10, v36, v10
	v_mov_b32_e32 v11, v39
	v_fmac_f32_e32 v38, 0x3f5db3d7, v12
	v_add_f32_e32 v8, v8, v13
	v_fmac_f32_e32 v11, 0xbf5db3d7, v10
	ds_write_b32 v19, v38 offset:72
	v_fmac_f32_e32 v39, 0x3f5db3d7, v10
	ds_write2_b32 v16, v8, v11 offset1:9
	ds_write_b32 v16, v39 offset:72
	v_mov_b32_e32 v8, 19
	v_mul_lo_u16_sdwa v8, v24, v8 dst_sel:DWORD dst_unused:UNUSED_PAD src0_sel:BYTE_0 src1_sel:DWORD
	v_lshrrev_b16_e32 v8, 9, v8
	v_mul_lo_u16_e32 v10, 27, v8
	v_sub_u16_e32 v19, v24, v10
	v_lshlrev_b32_sdwa v10, v5, v19 dst_sel:DWORD dst_unused:UNUSED_PAD src0_sel:DWORD src1_sel:BYTE_0
	s_waitcnt lgkmcnt(0)
	s_barrier
	global_load_dwordx4 v[10:13], v10, s[12:13] offset:192
	v_mul_u32_u24_sdwa v14, v25, s0 dst_sel:DWORD dst_unused:UNUSED_PAD src0_sel:WORD_0 src1_sel:DWORD
	v_sub_u16_sdwa v15, v25, v14 dst_sel:DWORD dst_unused:UNUSED_PAD src0_sel:DWORD src1_sel:WORD_1
	v_lshrrev_b16_e32 v15, 1, v15
	v_add_u16_sdwa v14, v15, v14 dst_sel:DWORD dst_unused:UNUSED_PAD src0_sel:DWORD src1_sel:WORD_1
	v_lshrrev_b16_e32 v40, 4, v14
	v_mul_lo_u16_e32 v14, 27, v40
	v_sub_u16_e32 v44, v25, v14
	v_lshlrev_b32_e32 v14, 4, v44
	global_load_dwordx4 v[14:17], v14, s[12:13] offset:192
	ds_read2_b32 v[35:36], v21 offset0:9 offset1:252
	ds_read2_b32 v[37:38], v22 offset0:7 offset1:250
	v_mul_u32_u24_e32 v8, 0x144, v8
	s_waitcnt vmcnt(1) lgkmcnt(1)
	v_mul_f32_e32 v39, v35, v11
	v_fma_f32 v45, v6, v10, -v39
	v_mul_f32_e32 v6, v6, v11
	v_fmac_f32_e32 v6, v35, v10
	s_waitcnt lgkmcnt(0)
	v_mul_f32_e32 v10, v38, v13
	v_fma_f32 v35, v32, v12, -v10
	v_mul_f32_e32 v32, v32, v13
	v_fmac_f32_e32 v32, v38, v12
	ds_read2_b32 v[38:39], v23 offset0:5 offset1:248
	s_waitcnt vmcnt(0)
	v_mul_f32_e32 v10, v36, v15
	v_fma_f32 v46, v7, v14, -v10
	v_mul_f32_e32 v7, v7, v15
	v_fmac_f32_e32 v7, v36, v14
	s_waitcnt lgkmcnt(0)
	v_mul_f32_e32 v10, v38, v17
	v_fma_f32 v36, v33, v16, -v10
	v_mul_u32_u24_sdwa v10, v26, s0 dst_sel:DWORD dst_unused:UNUSED_PAD src0_sel:WORD_0 src1_sel:DWORD
	v_sub_u16_sdwa v11, v26, v10 dst_sel:DWORD dst_unused:UNUSED_PAD src0_sel:DWORD src1_sel:WORD_1
	v_lshrrev_b16_e32 v11, 1, v11
	v_add_u16_sdwa v10, v11, v10 dst_sel:DWORD dst_unused:UNUSED_PAD src0_sel:DWORD src1_sel:WORD_1
	v_lshrrev_b16_e32 v14, 4, v10
	v_mul_lo_u16_e32 v10, 27, v14
	v_sub_u16_e32 v15, v26, v10
	v_lshlrev_b32_e32 v10, 4, v15
	global_load_dwordx4 v[10:13], v10, s[12:13] offset:192
	v_mul_f32_e32 v33, v33, v17
	v_fmac_f32_e32 v33, v38, v16
	v_mul_u32_u24_e32 v14, 0x144, v14
	v_lshlrev_b32_e32 v15, 2, v15
	s_movk_i32 s0, 0xcb
	s_waitcnt vmcnt(0)
	v_mul_f32_e32 v16, v37, v11
	v_mul_f32_e32 v11, v31, v11
	v_fma_f32 v38, v31, v10, -v16
	v_fmac_f32_e32 v11, v37, v10
	v_mul_f32_e32 v10, v39, v13
	v_mul_f32_e32 v13, v34, v13
	v_add_f32_e32 v16, v45, v35
	v_fma_f32 v10, v34, v12, -v10
	v_fmac_f32_e32 v13, v39, v12
	v_add_f32_e32 v12, v41, v45
	v_fmac_f32_e32 v41, -0.5, v16
	v_lshlrev_b32_sdwa v16, v9, v19 dst_sel:DWORD dst_unused:UNUSED_PAD src0_sel:DWORD src1_sel:BYTE_0
	v_add3_u32 v8, 0, v8, v16
	v_sub_f32_e32 v16, v6, v32
	v_mov_b32_e32 v17, v41
	v_add_f32_e32 v12, v12, v35
	v_fmac_f32_e32 v17, 0x3f5db3d7, v16
	v_fmac_f32_e32 v41, 0xbf5db3d7, v16
	v_add_f32_e32 v16, v46, v36
	ds_read_b32 v19, v0
	ds_read_b32 v34, v29
	;; [unrolled: 1-line block ×3, first 2 shown]
	s_waitcnt lgkmcnt(0)
	s_barrier
	ds_write2_b32 v8, v12, v17 offset1:27
	v_add_f32_e32 v12, v42, v46
	v_fmac_f32_e32 v42, -0.5, v16
	v_mul_u32_u24_e32 v16, 0x144, v40
	v_lshlrev_b32_e32 v17, 2, v44
	v_add3_u32 v39, 0, v16, v17
	v_sub_f32_e32 v16, v7, v33
	v_mov_b32_e32 v17, v42
	v_add_f32_e32 v12, v12, v36
	v_fmac_f32_e32 v17, 0x3f5db3d7, v16
	v_fmac_f32_e32 v42, 0xbf5db3d7, v16
	v_add_f32_e32 v16, v38, v10
	ds_write_b32 v8, v41 offset:216
	ds_write2_b32 v39, v12, v17 offset1:27
	v_add_f32_e32 v12, v43, v38
	v_fmac_f32_e32 v43, -0.5, v16
	v_add3_u32 v40, 0, v14, v15
	v_sub_f32_e32 v14, v11, v13
	v_mov_b32_e32 v15, v43
	v_add_f32_e32 v12, v12, v10
	v_fmac_f32_e32 v15, 0x3f5db3d7, v14
	ds_write_b32 v39, v42 offset:216
	ds_write2_b32 v40, v12, v15 offset1:27
	v_add_f32_e32 v12, v19, v6
	v_add_f32_e32 v6, v6, v32
	v_fmac_f32_e32 v19, -0.5, v6
	v_sub_f32_e32 v6, v45, v35
	v_mov_b32_e32 v35, v19
	v_fmac_f32_e32 v35, 0xbf5db3d7, v6
	v_fmac_f32_e32 v19, 0x3f5db3d7, v6
	v_add_f32_e32 v6, v34, v7
	v_add_f32_e32 v7, v7, v33
	;; [unrolled: 1-line block ×3, first 2 shown]
	v_fmac_f32_e32 v43, 0xbf5db3d7, v14
	v_fmac_f32_e32 v34, -0.5, v7
	ds_write_b32 v40, v43 offset:216
	s_waitcnt lgkmcnt(0)
	s_barrier
	ds_read_b32 v41, v0
	ds_read_b32 v42, v29
	;; [unrolled: 1-line block ×3, first 2 shown]
	ds_read2_b32 v[14:15], v21 offset0:9 offset1:252
	ds_read2_b32 v[16:17], v22 offset0:7 offset1:250
	;; [unrolled: 1-line block ×3, first 2 shown]
	s_waitcnt lgkmcnt(0)
	s_barrier
	ds_write2_b32 v8, v12, v35 offset1:27
	ds_write_b32 v8, v19 offset:216
	v_sub_f32_e32 v7, v46, v36
	v_mov_b32_e32 v8, v34
	v_add_f32_e32 v6, v6, v33
	v_fmac_f32_e32 v8, 0xbf5db3d7, v7
	v_fmac_f32_e32 v34, 0x3f5db3d7, v7
	v_add_f32_e32 v7, v11, v13
	ds_write2_b32 v39, v6, v8 offset1:27
	v_add_f32_e32 v6, v37, v11
	v_fmac_f32_e32 v37, -0.5, v7
	v_sub_f32_e32 v7, v38, v10
	v_mov_b32_e32 v8, v37
	v_add_f32_e32 v6, v6, v13
	v_fmac_f32_e32 v8, 0xbf5db3d7, v7
	ds_write_b32 v39, v34 offset:216
	v_fmac_f32_e32 v37, 0x3f5db3d7, v7
	ds_write2_b32 v40, v6, v8 offset1:27
	ds_write_b32 v40, v37 offset:216
	v_mul_lo_u16_sdwa v6, v24, s0 dst_sel:DWORD dst_unused:UNUSED_PAD src0_sel:BYTE_0 src1_sel:DWORD
	v_lshrrev_b16_e32 v19, 14, v6
	v_mul_lo_u16_e32 v6, 0x51, v19
	v_sub_u16_e32 v38, v24, v6
	v_lshlrev_b32_sdwa v5, v5, v38 dst_sel:DWORD dst_unused:UNUSED_PAD src0_sel:DWORD src1_sel:BYTE_0
	s_waitcnt lgkmcnt(0)
	s_barrier
	global_load_dwordx4 v[5:8], v5, s[12:13] offset:624
	s_movk_i32 s0, 0x6523
	v_mul_u32_u24_sdwa v10, v25, s0 dst_sel:DWORD dst_unused:UNUSED_PAD src0_sel:WORD_0 src1_sel:DWORD
	v_lshrrev_b32_e32 v39, 21, v10
	v_mul_lo_u16_e32 v10, 0x51, v39
	v_sub_u16_e32 v40, v25, v10
	v_lshlrev_b32_e32 v10, 4, v40
	global_load_dwordx4 v[10:13], v10, s[12:13] offset:624
	ds_read2_b32 v[33:34], v21 offset0:9 offset1:252
	ds_read2_b32 v[35:36], v22 offset0:7 offset1:250
	v_lshlrev_b32_sdwa v9, v9, v38 dst_sel:DWORD dst_unused:UNUSED_PAD src0_sel:DWORD src1_sel:BYTE_0
	s_waitcnt vmcnt(1) lgkmcnt(1)
	v_mul_f32_e32 v37, v33, v6
	v_fma_f32 v44, v14, v5, -v37
	v_mul_f32_e32 v14, v14, v6
	v_fmac_f32_e32 v14, v33, v5
	s_waitcnt lgkmcnt(0)
	v_mul_f32_e32 v5, v36, v8
	v_fma_f32 v33, v17, v7, -v5
	v_mul_f32_e32 v17, v17, v8
	v_fmac_f32_e32 v17, v36, v7
	ds_read2_b32 v[36:37], v23 offset0:5 offset1:248
	s_waitcnt vmcnt(0)
	v_mul_f32_e32 v5, v34, v11
	v_fma_f32 v45, v15, v10, -v5
	v_mul_f32_e32 v11, v15, v11
	v_fmac_f32_e32 v11, v34, v10
	s_waitcnt lgkmcnt(0)
	v_mul_f32_e32 v5, v36, v13
	v_fma_f32 v10, v31, v12, -v5
	v_mul_f32_e32 v34, v31, v13
	v_mul_u32_u24_sdwa v5, v26, s0 dst_sel:DWORD dst_unused:UNUSED_PAD src0_sel:WORD_0 src1_sel:DWORD
	v_fmac_f32_e32 v34, v36, v12
	v_lshrrev_b32_e32 v12, 21, v5
	v_mul_lo_u16_e32 v5, 0x51, v12
	v_sub_u16_e32 v13, v26, v5
	v_lshlrev_b32_e32 v5, 4, v13
	global_load_dwordx4 v[5:8], v5, s[12:13] offset:624
	v_mul_u32_u24_e32 v12, 0x3cc, v12
	v_lshlrev_b32_e32 v13, 2, v13
	v_add3_u32 v12, 0, v12, v13
	s_waitcnt vmcnt(0)
	v_mul_f32_e32 v15, v35, v6
	v_mul_f32_e32 v46, v16, v6
	v_fma_f32 v36, v16, v5, -v15
	v_fmac_f32_e32 v46, v35, v5
	v_mul_f32_e32 v5, v37, v8
	v_mul_f32_e32 v47, v32, v8
	v_fma_f32 v35, v32, v7, -v5
	v_fmac_f32_e32 v47, v37, v7
	v_lshlrev_b32_e32 v7, 1, v24
	v_mov_b32_e32 v8, 0
	v_lshlrev_b64 v[5:6], 3, v[7:8]
	v_mov_b32_e32 v15, s13
	v_add_co_u32_e64 v5, s[0:1], s12, v5
	v_addc_co_u32_e64 v6, s[0:1], v15, v6, s[0:1]
	v_add_f32_e32 v15, v44, v33
	v_add_f32_e32 v7, v41, v44
	v_fmac_f32_e32 v41, -0.5, v15
	v_mul_u32_u24_e32 v15, 0x3cc, v19
	v_add3_u32 v9, 0, v15, v9
	v_sub_f32_e32 v15, v14, v17
	v_mov_b32_e32 v16, v41
	v_add_f32_e32 v7, v7, v33
	v_fmac_f32_e32 v16, 0x3f5db3d7, v15
	v_fmac_f32_e32 v41, 0xbf5db3d7, v15
	v_add_f32_e32 v15, v45, v10
	ds_read_b32 v19, v0
	ds_read_b32 v37, v29
	;; [unrolled: 1-line block ×3, first 2 shown]
	s_waitcnt lgkmcnt(0)
	s_barrier
	ds_write2_b32 v9, v7, v16 offset1:81
	v_add_f32_e32 v7, v42, v45
	v_fmac_f32_e32 v42, -0.5, v15
	v_mul_u32_u24_e32 v15, 0x3cc, v39
	v_lshlrev_b32_e32 v16, 2, v40
	v_add3_u32 v39, 0, v15, v16
	v_sub_f32_e32 v15, v11, v34
	v_mov_b32_e32 v16, v42
	v_add_f32_e32 v7, v7, v10
	v_fmac_f32_e32 v16, 0x3f5db3d7, v15
	v_fmac_f32_e32 v42, 0xbf5db3d7, v15
	v_add_f32_e32 v15, v36, v35
	ds_write_b32 v9, v41 offset:648
	ds_write2_b32 v39, v7, v16 offset1:81
	v_add_f32_e32 v7, v43, v36
	v_fmac_f32_e32 v43, -0.5, v15
	v_sub_f32_e32 v13, v46, v47
	v_mov_b32_e32 v15, v43
	v_add_f32_e32 v7, v7, v35
	v_fmac_f32_e32 v15, 0x3f5db3d7, v13
	ds_write_b32 v39, v42 offset:648
	ds_write2_b32 v12, v7, v15 offset1:81
	v_add_f32_e32 v7, v19, v14
	v_add_f32_e32 v14, v14, v17
	v_fmac_f32_e32 v19, -0.5, v14
	v_add_f32_e32 v7, v7, v17
	v_sub_f32_e32 v17, v44, v33
	v_mov_b32_e32 v33, v19
	v_fmac_f32_e32 v43, 0xbf5db3d7, v13
	v_fmac_f32_e32 v33, 0xbf5db3d7, v17
	v_fmac_f32_e32 v19, 0x3f5db3d7, v17
	ds_write_b32 v12, v43 offset:648
	s_waitcnt lgkmcnt(0)
	s_barrier
	ds_read_b32 v40, v0
	ds_read_b32 v41, v29
	;; [unrolled: 1-line block ×3, first 2 shown]
	ds_read2_b32 v[13:14], v21 offset0:9 offset1:252
	ds_read2_b32 v[15:16], v22 offset0:7 offset1:250
	;; [unrolled: 1-line block ×3, first 2 shown]
	s_waitcnt lgkmcnt(0)
	s_barrier
	ds_write2_b32 v9, v7, v33 offset1:81
	ds_write_b32 v9, v19 offset:648
	v_add_f32_e32 v9, v11, v34
	v_add_f32_e32 v7, v37, v11
	v_fmac_f32_e32 v37, -0.5, v9
	v_sub_f32_e32 v9, v45, v10
	v_mov_b32_e32 v10, v37
	v_add_f32_e32 v7, v7, v34
	v_fmac_f32_e32 v10, 0xbf5db3d7, v9
	v_fmac_f32_e32 v37, 0x3f5db3d7, v9
	v_add_f32_e32 v9, v46, v47
	ds_write2_b32 v39, v7, v10 offset1:81
	v_add_f32_e32 v7, v38, v46
	v_fmac_f32_e32 v38, -0.5, v9
	v_sub_f32_e32 v9, v36, v35
	v_mov_b32_e32 v10, v38
	v_add_f32_e32 v7, v7, v47
	v_fmac_f32_e32 v10, 0xbf5db3d7, v9
	v_fmac_f32_e32 v38, 0x3f5db3d7, v9
	ds_write_b32 v39, v37 offset:648
	ds_write2_b32 v12, v7, v10 offset1:81
	ds_write_b32 v12, v38 offset:648
	s_waitcnt lgkmcnt(0)
	s_barrier
	global_load_dwordx4 v[9:12], v[5:6], off offset:1920
	ds_read2_b32 v[33:34], v21 offset0:9 offset1:252
	ds_read2_b32 v[35:36], v22 offset0:7 offset1:250
	s_movk_i32 s0, 0xdb3
	v_add_u32_e32 v46, 0x780, v0
	s_waitcnt vmcnt(0) lgkmcnt(1)
	v_mul_f32_e32 v7, v33, v10
	v_mul_f32_e32 v17, v34, v10
	v_fma_f32 v7, v13, v9, -v7
	v_fma_f32 v19, v14, v9, -v17
	v_mul_f32_e32 v17, v13, v10
	v_mul_f32_e32 v37, v14, v10
	ds_read2_b32 v[13:14], v23 offset0:5 offset1:248
	v_fmac_f32_e32 v17, v33, v9
	v_fmac_f32_e32 v37, v34, v9
	s_waitcnt lgkmcnt(1)
	v_mul_f32_e32 v9, v36, v12
	v_fma_f32 v33, v16, v11, -v9
	v_mul_f32_e32 v34, v16, v12
	s_waitcnt lgkmcnt(0)
	v_mul_f32_e32 v9, v13, v12
	v_fmac_f32_e32 v34, v36, v11
	v_fma_f32 v36, v31, v11, -v9
	v_mul_u32_u24_sdwa v9, v26, s0 dst_sel:DWORD dst_unused:UNUSED_PAD src0_sel:WORD_0 src1_sel:DWORD
	v_sub_u16_sdwa v10, v26, v9 dst_sel:DWORD dst_unused:UNUSED_PAD src0_sel:DWORD src1_sel:WORD_1
	v_lshrrev_b16_e32 v10, 1, v10
	v_add_u16_sdwa v9, v10, v9 dst_sel:DWORD dst_unused:UNUSED_PAD src0_sel:DWORD src1_sel:WORD_1
	v_lshrrev_b16_e32 v9, 7, v9
	v_mul_f32_e32 v31, v31, v12
	v_mul_lo_u16_e32 v9, 0xf3, v9
	v_fmac_f32_e32 v31, v13, v11
	v_sub_u16_e32 v13, v26, v9
	v_lshlrev_b32_e32 v9, 4, v13
	global_load_dwordx4 v[9:12], v9, s[12:13] offset:1920
	ds_read_b32 v43, v0
	ds_read_b32 v44, v29
	;; [unrolled: 1-line block ×3, first 2 shown]
	s_waitcnt vmcnt(0) lgkmcnt(0)
	s_barrier
	v_add_f32_e32 v48, v43, v17
	v_mul_f32_e32 v16, v35, v10
	v_mul_f32_e32 v39, v15, v10
	v_fma_f32 v38, v15, v9, -v16
	v_fmac_f32_e32 v39, v35, v9
	v_mul_f32_e32 v9, v14, v12
	v_add_f32_e32 v10, v7, v33
	v_fma_f32 v35, v32, v11, -v9
	v_mul_f32_e32 v32, v32, v12
	v_add_f32_e32 v9, v40, v7
	v_fmac_f32_e32 v40, -0.5, v10
	v_fmac_f32_e32 v32, v14, v11
	v_sub_f32_e32 v10, v17, v34
	v_mov_b32_e32 v11, v40
	v_add_f32_e32 v9, v9, v33
	v_fmac_f32_e32 v11, 0x3f5db3d7, v10
	ds_write2_b32 v0, v9, v11 offset1:243
	v_add_f32_e32 v9, v41, v19
	v_fmac_f32_e32 v40, 0xbf5db3d7, v10
	v_add_f32_e32 v9, v9, v36
	ds_write2_b32 v46, v40, v9 offset0:6 offset1:249
	v_add_f32_e32 v9, v19, v36
	v_fmac_f32_e32 v41, -0.5, v9
	v_sub_f32_e32 v9, v37, v31
	v_mov_b32_e32 v10, v41
	v_fmac_f32_e32 v10, 0x3f5db3d7, v9
	v_fmac_f32_e32 v41, 0xbf5db3d7, v9
	v_add_u32_e32 v40, 0xf00, v0
	ds_write2_b32 v40, v10, v41 offset0:12 offset1:255
	v_add_f32_e32 v10, v38, v35
	v_add_f32_e32 v9, v42, v38
	v_fmac_f32_e32 v42, -0.5, v10
	v_sub_f32_e32 v10, v39, v32
	v_mov_b32_e32 v11, v42
	v_lshl_add_u32 v41, v13, 2, 0
	v_add_f32_e32 v9, v9, v35
	v_fmac_f32_e32 v11, 0x3f5db3d7, v10
	v_add_u32_e32 v47, 0x16c0, v41
	ds_write2_b32 v47, v9, v11 offset0:2 offset1:245
	v_add_f32_e32 v9, v17, v34
	v_fmac_f32_e32 v43, -0.5, v9
	v_fmac_f32_e32 v42, 0xbf5db3d7, v10
	v_add_f32_e32 v9, v44, v37
	ds_write_b32 v41, v42 offset:7776
	v_add_f32_e32 v42, v9, v31
	s_waitcnt lgkmcnt(0)
	s_barrier
	ds_read_b32 v17, v30
	ds_read_b32 v16, v29
	;; [unrolled: 1-line block ×3, first 2 shown]
	ds_read2_b32 v[11:12], v21 offset0:9 offset1:252
	ds_read2_b32 v[9:10], v22 offset0:7 offset1:250
	;; [unrolled: 1-line block ×3, first 2 shown]
	v_add_f32_e32 v29, v37, v31
	v_fmac_f32_e32 v44, -0.5, v29
	v_sub_f32_e32 v7, v7, v33
	v_mov_b32_e32 v33, v43
	v_sub_f32_e32 v19, v19, v36
	v_mov_b32_e32 v29, v44
	v_fmac_f32_e32 v29, 0xbf5db3d7, v19
	v_fmac_f32_e32 v44, 0x3f5db3d7, v19
	v_add_f32_e32 v19, v48, v34
	v_fmac_f32_e32 v33, 0xbf5db3d7, v7
	s_waitcnt lgkmcnt(0)
	s_barrier
	ds_write2_b32 v0, v19, v33 offset1:243
	v_add_f32_e32 v19, v39, v32
	v_fmac_f32_e32 v43, 0x3f5db3d7, v7
	v_add_f32_e32 v7, v45, v39
	v_fmac_f32_e32 v45, -0.5, v19
	ds_write2_b32 v40, v29, v44 offset0:12 offset1:255
	v_sub_f32_e32 v19, v38, v35
	v_mov_b32_e32 v29, v45
	v_add_f32_e32 v7, v7, v32
	v_fmac_f32_e32 v29, 0xbf5db3d7, v19
	v_fmac_f32_e32 v45, 0x3f5db3d7, v19
	ds_write2_b32 v46, v43, v42 offset0:6 offset1:249
	ds_write2_b32 v47, v7, v29 offset0:2 offset1:245
	ds_write_b32 v41, v45 offset:7776
	s_waitcnt lgkmcnt(0)
	s_barrier
	s_and_saveexec_b64 s[0:1], vcc
	s_cbranch_execz .LBB0_15
; %bb.14:
	v_lshlrev_b32_e32 v7, 1, v26
	v_lshlrev_b64 v[29:30], 3, v[7:8]
	v_mov_b32_e32 v19, s13
	v_add_co_u32_e32 v7, vcc, s12, v29
	v_addc_co_u32_e32 v26, vcc, v19, v30, vcc
	v_add_co_u32_e32 v29, vcc, 0x1000, v7
	v_lshlrev_b32_e32 v7, 1, v25
	v_lshlrev_b64 v[7:8], 3, v[7:8]
	v_addc_co_u32_e32 v30, vcc, 0, v26, vcc
	v_add_co_u32_e32 v7, vcc, s12, v7
	s_movk_i32 s0, 0x1000
	v_addc_co_u32_e32 v8, vcc, v19, v8, vcc
	v_add_co_u32_e32 v7, vcc, s0, v7
	global_load_dwordx4 v[29:32], v[29:30], off offset:1712
	v_addc_co_u32_e32 v8, vcc, 0, v8, vcc
	global_load_dwordx4 v[33:36], v[7:8], off offset:1712
	v_add_co_u32_e32 v5, vcc, s0, v5
	v_addc_co_u32_e32 v6, vcc, 0, v6, vcc
	global_load_dwordx4 v[5:8], v[5:6], off offset:1712
	v_sub_u32_e32 v19, 0, v27
	v_sub_u32_e32 v37, 0, v28
	ds_read2_b32 v[25:26], v22 offset0:7 offset1:250
	ds_read2_b32 v[22:23], v23 offset0:5 offset1:248
	;; [unrolled: 1-line block ×3, first 2 shown]
	v_mul_lo_u32 v38, s5, v3
	v_mul_lo_u32 v39, s4, v4
	v_mad_u64_u32 v[3:4], s[0:1], s4, v3, 0
	v_add_u32_e32 v20, v20, v37
	v_add_u32_e32 v18, v18, v19
	ds_read_b32 v19, v20
	ds_read_b32 v20, v18
	v_add3_u32 v4, v4, v39, v38
	ds_read_b32 v0, v0
	s_mov_b32 s4, 0x59e60383
	v_lshlrev_b64 v[3:4], 3, v[3:4]
	s_movk_i32 s5, 0x88b
	s_waitcnt vmcnt(2) lgkmcnt(5)
	v_mul_f32_e32 v18, v25, v30
	s_waitcnt lgkmcnt(4)
	v_mul_f32_e32 v21, v23, v32
	v_mul_f32_e32 v30, v9, v30
	;; [unrolled: 1-line block ×3, first 2 shown]
	s_waitcnt vmcnt(1) lgkmcnt(3)
	v_mul_f32_e32 v37, v28, v34
	v_mul_f32_e32 v38, v22, v36
	;; [unrolled: 1-line block ×3, first 2 shown]
	v_fmac_f32_e32 v30, v29, v25
	v_fmac_f32_e32 v32, v31, v23
	v_mul_f32_e32 v36, v13, v36
	v_fma_f32 v9, v9, v29, -v18
	v_fma_f32 v14, v14, v31, -v21
	v_fma_f32 v21, v13, v35, -v38
	v_fmac_f32_e32 v34, v33, v28
	v_add_f32_e32 v13, v30, v32
	v_fma_f32 v12, v12, v33, -v37
	v_fmac_f32_e32 v36, v35, v22
	v_sub_f32_e32 v23, v9, v14
	v_add_f32_e32 v22, v9, v14
	v_add_f32_e32 v9, v17, v9
	s_waitcnt lgkmcnt(1)
	v_add_f32_e32 v29, v34, v20
	v_fma_f32 v13, -0.5, v13, v19
	v_add_f32_e32 v18, v30, v19
	v_sub_f32_e32 v25, v30, v32
	v_sub_f32_e32 v33, v12, v21
	v_add_f32_e32 v30, v12, v21
	v_add_f32_e32 v31, v16, v12
	v_fma_f32 v12, -0.5, v22, v17
	v_add_f32_e32 v17, v9, v14
	v_add_f32_e32 v22, v36, v29
	v_mov_b32_e32 v29, v13
	s_waitcnt vmcnt(0)
	v_mul_f32_e32 v9, v27, v6
	v_fmac_f32_e32 v13, 0xbf5db3d7, v23
	v_fmac_f32_e32 v29, 0x3f5db3d7, v23
	v_fma_f32 v9, v11, v5, -v9
	v_mul_f32_e32 v14, v26, v8
	v_mul_f32_e32 v11, v11, v6
	;; [unrolled: 1-line block ×3, first 2 shown]
	v_fma_f32 v14, v10, v7, -v14
	v_fmac_f32_e32 v11, v5, v27
	v_fmac_f32_e32 v23, v7, v26
	v_mul_hi_u32 v7, v24, s4
	v_add_f32_e32 v5, v11, v23
	s_waitcnt lgkmcnt(0)
	v_fma_f32 v6, -0.5, v5, v0
	v_add_f32_e32 v0, v11, v0
	v_add_f32_e32 v10, v23, v0
	;; [unrolled: 1-line block ×3, first 2 shown]
	v_fma_f32 v5, -0.5, v0, v15
	v_lshrrev_b32_e32 v0, 8, v7
	v_add_f32_e32 v28, v34, v36
	v_fma_f32 v19, -0.5, v30, v16
	v_sub_f32_e32 v16, v9, v14
	v_mov_b32_e32 v8, v6
	v_mul_u32_u24_e32 v0, 0x2d9, v0
	v_fma_f32 v20, -0.5, v28, v20
	v_mov_b32_e32 v28, v12
	v_fmac_f32_e32 v8, 0x3f5db3d7, v16
	v_fmac_f32_e32 v6, 0xbf5db3d7, v16
	v_sub_u32_e32 v16, v24, v0
	v_fmac_f32_e32 v12, 0x3f5db3d7, v25
	v_fmac_f32_e32 v28, 0xbf5db3d7, v25
	v_mad_u64_u32 v[25:26], s[0:1], s2, v16, 0
	v_sub_f32_e32 v11, v11, v23
	v_mov_b32_e32 v7, v5
	v_mov_b32_e32 v0, v26
	v_mad_u64_u32 v[26:27], s[0:1], s3, v16, v[0:1]
	v_add_f32_e32 v0, v15, v9
	v_fmac_f32_e32 v7, 0xbf5db3d7, v11
	v_fmac_f32_e32 v5, 0x3f5db3d7, v11
	v_add_f32_e32 v9, v0, v14
	v_mov_b32_e32 v0, s11
	v_add_co_u32_e32 v11, vcc, s10, v3
	v_add_u32_e32 v14, 0x2d9, v16
	v_addc_co_u32_e32 v4, vcc, v0, v4, vcc
	v_lshlrev_b64 v[0:1], 3, v[1:2]
	v_mad_u64_u32 v[2:3], s[0:1], s2, v14, 0
	v_add_co_u32_e32 v11, vcc, v11, v0
	v_addc_co_u32_e32 v15, vcc, v4, v1, vcc
	v_lshlrev_b64 v[0:1], 3, v[25:26]
	v_mad_u64_u32 v[3:4], s[0:1], s3, v14, v[3:4]
	v_add_co_u32_e32 v0, vcc, v11, v0
	v_addc_co_u32_e32 v1, vcc, v15, v1, vcc
	v_add_u32_e32 v4, 0x5b2, v16
	global_store_dwordx2 v[0:1], v[9:10], off
	v_lshlrev_b64 v[0:1], 3, v[2:3]
	v_mad_u64_u32 v[2:3], s[0:1], s2, v4, 0
	v_add_co_u32_e32 v0, vcc, v11, v0
	v_mad_u64_u32 v[3:4], s[0:1], s3, v4, v[3:4]
	v_add_u32_e32 v4, 0xf3, v24
	v_mul_hi_u32 v9, v4, s4
	v_addc_co_u32_e32 v1, vcc, v15, v1, vcc
	global_store_dwordx2 v[0:1], v[5:6], off
	v_lshlrev_b64 v[0:1], 3, v[2:3]
	v_lshrrev_b32_e32 v2, 8, v9
	v_mul_u32_u24_e32 v3, 0x2d9, v2
	v_sub_u32_e32 v3, v4, v3
	v_mad_u32_u24 v6, v2, s5, v3
	v_mad_u64_u32 v[2:3], s[0:1], s2, v6, 0
	v_add_u32_e32 v9, 0x2d9, v6
	v_add_co_u32_e32 v0, vcc, v11, v0
	v_mad_u64_u32 v[3:4], s[0:1], s3, v6, v[3:4]
	v_mad_u64_u32 v[4:5], s[0:1], s2, v9, 0
	v_addc_co_u32_e32 v1, vcc, v15, v1, vcc
	global_store_dwordx2 v[0:1], v[7:8], off
	v_lshlrev_b64 v[0:1], 3, v[2:3]
	v_mov_b32_e32 v2, v5
	v_mad_u64_u32 v[2:3], s[0:1], s3, v9, v[2:3]
	v_add_co_u32_e32 v0, vcc, v11, v0
	v_add_f32_e32 v21, v31, v21
	v_addc_co_u32_e32 v1, vcc, v15, v1, vcc
	v_mov_b32_e32 v5, v2
	global_store_dwordx2 v[0:1], v[21:22], off
	v_lshlrev_b64 v[0:1], 3, v[4:5]
	v_add_u32_e32 v4, 0x5b2, v6
	v_mad_u64_u32 v[2:3], s[0:1], s2, v4, 0
	v_add_u32_e32 v5, 0x1e6, v24
	v_mul_hi_u32 v6, v5, s4
	v_mad_u64_u32 v[3:4], s[0:1], s3, v4, v[3:4]
	v_sub_f32_e32 v34, v34, v36
	v_lshrrev_b32_e32 v4, 8, v6
	v_mul_u32_u24_e32 v6, 0x2d9, v4
	v_sub_u32_e32 v5, v5, v6
	v_mad_u32_u24 v6, v4, s5, v5
	v_mad_u64_u32 v[4:5], s[0:1], s2, v6, 0
	v_add_co_u32_e32 v0, vcc, v11, v0
	v_mov_b32_e32 v31, v20
	v_fmac_f32_e32 v20, 0xbf5db3d7, v33
	v_mov_b32_e32 v30, v19
	v_fmac_f32_e32 v19, 0x3f5db3d7, v34
	v_addc_co_u32_e32 v1, vcc, v15, v1, vcc
	global_store_dwordx2 v[0:1], v[19:20], off
	v_lshlrev_b64 v[0:1], 3, v[2:3]
	v_mov_b32_e32 v2, v5
	v_mad_u64_u32 v[2:3], s[0:1], s3, v6, v[2:3]
	v_add_co_u32_e32 v0, vcc, v11, v0
	v_fmac_f32_e32 v31, 0x3f5db3d7, v33
	v_fmac_f32_e32 v30, 0xbf5db3d7, v34
	v_addc_co_u32_e32 v1, vcc, v15, v1, vcc
	v_mov_b32_e32 v5, v2
	global_store_dwordx2 v[0:1], v[30:31], off
	v_lshlrev_b64 v[0:1], 3, v[4:5]
	v_add_u32_e32 v4, 0x2d9, v6
	v_mad_u64_u32 v[2:3], s[0:1], s2, v4, 0
	v_add_u32_e32 v6, 0x5b2, v6
	v_add_co_u32_e32 v0, vcc, v11, v0
	v_mad_u64_u32 v[3:4], s[0:1], s3, v4, v[3:4]
	v_mad_u64_u32 v[4:5], s[0:1], s2, v6, 0
	v_add_f32_e32 v18, v32, v18
	v_addc_co_u32_e32 v1, vcc, v15, v1, vcc
	global_store_dwordx2 v[0:1], v[17:18], off
	v_lshlrev_b64 v[0:1], 3, v[2:3]
	v_mov_b32_e32 v2, v5
	v_mad_u64_u32 v[2:3], s[0:1], s3, v6, v[2:3]
	v_add_co_u32_e32 v0, vcc, v11, v0
	v_addc_co_u32_e32 v1, vcc, v15, v1, vcc
	v_mov_b32_e32 v5, v2
	global_store_dwordx2 v[0:1], v[12:13], off
	v_lshlrev_b64 v[0:1], 3, v[4:5]
	v_add_co_u32_e32 v0, vcc, v11, v0
	v_addc_co_u32_e32 v1, vcc, v15, v1, vcc
	global_store_dwordx2 v[0:1], v[28:29], off
.LBB0_15:
	s_endpgm
	.section	.rodata,"a",@progbits
	.p2align	6, 0x0
	.amdhsa_kernel fft_rtc_fwd_len2187_factors_3_3_3_3_3_3_3_wgs_243_tpt_243_halfLds_sp_op_CI_CI_sbrr_dirReg
		.amdhsa_group_segment_fixed_size 0
		.amdhsa_private_segment_fixed_size 0
		.amdhsa_kernarg_size 104
		.amdhsa_user_sgpr_count 6
		.amdhsa_user_sgpr_private_segment_buffer 1
		.amdhsa_user_sgpr_dispatch_ptr 0
		.amdhsa_user_sgpr_queue_ptr 0
		.amdhsa_user_sgpr_kernarg_segment_ptr 1
		.amdhsa_user_sgpr_dispatch_id 0
		.amdhsa_user_sgpr_flat_scratch_init 0
		.amdhsa_user_sgpr_private_segment_size 0
		.amdhsa_uses_dynamic_stack 0
		.amdhsa_system_sgpr_private_segment_wavefront_offset 0
		.amdhsa_system_sgpr_workgroup_id_x 1
		.amdhsa_system_sgpr_workgroup_id_y 0
		.amdhsa_system_sgpr_workgroup_id_z 0
		.amdhsa_system_sgpr_workgroup_info 0
		.amdhsa_system_vgpr_workitem_id 0
		.amdhsa_next_free_vgpr 49
		.amdhsa_next_free_sgpr 32
		.amdhsa_reserve_vcc 1
		.amdhsa_reserve_flat_scratch 0
		.amdhsa_float_round_mode_32 0
		.amdhsa_float_round_mode_16_64 0
		.amdhsa_float_denorm_mode_32 3
		.amdhsa_float_denorm_mode_16_64 3
		.amdhsa_dx10_clamp 1
		.amdhsa_ieee_mode 1
		.amdhsa_fp16_overflow 0
		.amdhsa_exception_fp_ieee_invalid_op 0
		.amdhsa_exception_fp_denorm_src 0
		.amdhsa_exception_fp_ieee_div_zero 0
		.amdhsa_exception_fp_ieee_overflow 0
		.amdhsa_exception_fp_ieee_underflow 0
		.amdhsa_exception_fp_ieee_inexact 0
		.amdhsa_exception_int_div_zero 0
	.end_amdhsa_kernel
	.text
.Lfunc_end0:
	.size	fft_rtc_fwd_len2187_factors_3_3_3_3_3_3_3_wgs_243_tpt_243_halfLds_sp_op_CI_CI_sbrr_dirReg, .Lfunc_end0-fft_rtc_fwd_len2187_factors_3_3_3_3_3_3_3_wgs_243_tpt_243_halfLds_sp_op_CI_CI_sbrr_dirReg
                                        ; -- End function
	.section	.AMDGPU.csdata,"",@progbits
; Kernel info:
; codeLenInByte = 7472
; NumSgprs: 36
; NumVgprs: 49
; ScratchSize: 0
; MemoryBound: 0
; FloatMode: 240
; IeeeMode: 1
; LDSByteSize: 0 bytes/workgroup (compile time only)
; SGPRBlocks: 4
; VGPRBlocks: 12
; NumSGPRsForWavesPerEU: 36
; NumVGPRsForWavesPerEU: 49
; Occupancy: 4
; WaveLimiterHint : 1
; COMPUTE_PGM_RSRC2:SCRATCH_EN: 0
; COMPUTE_PGM_RSRC2:USER_SGPR: 6
; COMPUTE_PGM_RSRC2:TRAP_HANDLER: 0
; COMPUTE_PGM_RSRC2:TGID_X_EN: 1
; COMPUTE_PGM_RSRC2:TGID_Y_EN: 0
; COMPUTE_PGM_RSRC2:TGID_Z_EN: 0
; COMPUTE_PGM_RSRC2:TIDIG_COMP_CNT: 0
	.type	__hip_cuid_530f96065ddc4760,@object ; @__hip_cuid_530f96065ddc4760
	.section	.bss,"aw",@nobits
	.globl	__hip_cuid_530f96065ddc4760
__hip_cuid_530f96065ddc4760:
	.byte	0                               ; 0x0
	.size	__hip_cuid_530f96065ddc4760, 1

	.ident	"AMD clang version 19.0.0git (https://github.com/RadeonOpenCompute/llvm-project roc-6.4.0 25133 c7fe45cf4b819c5991fe208aaa96edf142730f1d)"
	.section	".note.GNU-stack","",@progbits
	.addrsig
	.addrsig_sym __hip_cuid_530f96065ddc4760
	.amdgpu_metadata
---
amdhsa.kernels:
  - .args:
      - .actual_access:  read_only
        .address_space:  global
        .offset:         0
        .size:           8
        .value_kind:     global_buffer
      - .offset:         8
        .size:           8
        .value_kind:     by_value
      - .actual_access:  read_only
        .address_space:  global
        .offset:         16
        .size:           8
        .value_kind:     global_buffer
      - .actual_access:  read_only
        .address_space:  global
        .offset:         24
        .size:           8
        .value_kind:     global_buffer
      - .actual_access:  read_only
        .address_space:  global
        .offset:         32
        .size:           8
        .value_kind:     global_buffer
      - .offset:         40
        .size:           8
        .value_kind:     by_value
      - .actual_access:  read_only
        .address_space:  global
        .offset:         48
        .size:           8
        .value_kind:     global_buffer
      - .actual_access:  read_only
        .address_space:  global
        .offset:         56
        .size:           8
        .value_kind:     global_buffer
      - .offset:         64
        .size:           4
        .value_kind:     by_value
      - .actual_access:  read_only
        .address_space:  global
        .offset:         72
        .size:           8
        .value_kind:     global_buffer
      - .actual_access:  read_only
        .address_space:  global
        .offset:         80
        .size:           8
        .value_kind:     global_buffer
      - .actual_access:  read_only
        .address_space:  global
        .offset:         88
        .size:           8
        .value_kind:     global_buffer
      - .actual_access:  write_only
        .address_space:  global
        .offset:         96
        .size:           8
        .value_kind:     global_buffer
    .group_segment_fixed_size: 0
    .kernarg_segment_align: 8
    .kernarg_segment_size: 104
    .language:       OpenCL C
    .language_version:
      - 2
      - 0
    .max_flat_workgroup_size: 243
    .name:           fft_rtc_fwd_len2187_factors_3_3_3_3_3_3_3_wgs_243_tpt_243_halfLds_sp_op_CI_CI_sbrr_dirReg
    .private_segment_fixed_size: 0
    .sgpr_count:     36
    .sgpr_spill_count: 0
    .symbol:         fft_rtc_fwd_len2187_factors_3_3_3_3_3_3_3_wgs_243_tpt_243_halfLds_sp_op_CI_CI_sbrr_dirReg.kd
    .uniform_work_group_size: 1
    .uses_dynamic_stack: false
    .vgpr_count:     49
    .vgpr_spill_count: 0
    .wavefront_size: 64
amdhsa.target:   amdgcn-amd-amdhsa--gfx906
amdhsa.version:
  - 1
  - 2
...

	.end_amdgpu_metadata
